;; amdgpu-corpus repo=ROCm/rocFFT kind=compiled arch=gfx1030 opt=O3
	.text
	.amdgcn_target "amdgcn-amd-amdhsa--gfx1030"
	.amdhsa_code_object_version 6
	.protected	bluestein_single_back_len440_dim1_dp_op_CI_CI ; -- Begin function bluestein_single_back_len440_dim1_dp_op_CI_CI
	.globl	bluestein_single_back_len440_dim1_dp_op_CI_CI
	.p2align	8
	.type	bluestein_single_back_len440_dim1_dp_op_CI_CI,@function
bluestein_single_back_len440_dim1_dp_op_CI_CI: ; @bluestein_single_back_len440_dim1_dp_op_CI_CI
; %bb.0:
	s_load_dwordx4 s[0:3], s[4:5], 0x28
	v_mul_u32_u24_e32 v1, 0x4a8, v0
	v_mov_b32_e32 v113, 0
	v_lshrrev_b32_e32 v1, 16, v1
	v_add_nc_u32_e32 v112, s6, v1
	s_waitcnt lgkmcnt(0)
	v_cmp_gt_u64_e32 vcc_lo, s[0:1], v[112:113]
	s_and_saveexec_b32 s0, vcc_lo
	s_cbranch_execz .LBB0_23
; %bb.1:
	v_mul_lo_u16 v1, v1, 55
	s_clause 0x1
	s_load_dwordx2 s[14:15], s[4:5], 0x0
	s_load_dwordx2 s[12:13], s[4:5], 0x38
	v_sub_nc_u16 v0, v0, v1
	v_and_b32_e32 v195, 0xffff, v0
	v_cmp_gt_u16_e32 vcc_lo, 40, v0
	v_lshlrev_b32_e32 v193, 4, v195
	v_or_b32_e32 v194, 0x140, v195
	s_and_saveexec_b32 s1, vcc_lo
	s_cbranch_execz .LBB0_3
; %bb.2:
	s_load_dwordx2 s[6:7], s[4:5], 0x18
	s_waitcnt lgkmcnt(0)
	v_add_co_u32 v23, s0, s14, v193
	v_add_co_ci_u32_e64 v24, null, s15, 0, s0
	v_lshlrev_b32_e32 v22, 4, v194
	s_load_dwordx4 s[8:11], s[6:7], 0x0
	s_waitcnt lgkmcnt(0)
	v_mad_u64_u32 v[16:17], null, s10, v112, 0
	v_mad_u64_u32 v[18:19], null, s8, v195, 0
	s_mul_i32 s6, s9, 0x280
	s_mul_hi_u32 s7, s8, 0x280
	s_mul_i32 s10, s8, 0x280
	s_add_i32 s7, s7, s6
	v_mov_b32_e32 v0, v17
	v_mov_b32_e32 v1, v19
	v_mad_u64_u32 v[2:3], null, s11, v112, v[0:1]
	v_mov_b32_e32 v17, v2
	v_mad_u64_u32 v[19:20], null, s9, v195, v[1:2]
	v_mad_u64_u32 v[20:21], null, s8, v194, 0
	v_lshlrev_b64 v[16:17], 4, v[16:17]
	s_clause 0x3
	global_load_dwordx4 v[0:3], v193, s[14:15]
	global_load_dwordx4 v[4:7], v193, s[14:15] offset:640
	global_load_dwordx4 v[8:11], v193, s[14:15] offset:1280
	;; [unrolled: 1-line block ×3, first 2 shown]
	v_lshlrev_b64 v[18:19], 4, v[18:19]
	v_add_co_u32 v25, s0, s2, v16
	v_add_co_ci_u32_e64 v26, s0, s3, v17, s0
	v_add_co_u32 v32, s0, v25, v18
	v_add_co_ci_u32_e64 v33, s0, v26, v19, s0
	global_load_dwordx4 v[16:19], v22, s[14:15]
	v_add_co_u32 v40, s0, v32, s10
	v_add_co_ci_u32_e64 v41, s0, s7, v33, s0
	v_mad_u64_u32 v[21:22], null, s9, v194, v[21:22]
	v_add_co_u32 v44, s0, v40, s10
	v_add_co_ci_u32_e64 v45, s0, s7, v41, s0
	v_add_co_u32 v48, s0, v44, s10
	v_add_co_ci_u32_e64 v49, s0, s7, v45, s0
	v_lshlrev_b64 v[20:21], 4, v[20:21]
	v_add_co_u32 v52, s0, v48, s10
	v_add_co_ci_u32_e64 v53, s0, s7, v49, s0
	v_add_co_u32 v36, s0, 0x800, v23
	v_add_co_ci_u32_e64 v37, s0, 0, v24, s0
	;; [unrolled: 2-line block ×6, first 2 shown]
	v_mad_u64_u32 v[76:77], null, 0x500, s8, v[64:65]
	v_add_co_u32 v28, s0, v25, v20
	v_add_co_ci_u32_e64 v29, s0, v26, v21, s0
	v_add_co_u32 v80, s0, 0x1800, v23
	v_mov_b32_e32 v38, v77
	v_add_co_ci_u32_e64 v81, s0, 0, v24, s0
	s_clause 0x1
	global_load_dwordx4 v[20:23], v[36:37], off offset:512
	global_load_dwordx4 v[24:27], v[36:37], off offset:1152
	s_clause 0x1
	global_load_dwordx4 v[28:31], v[28:29], off
	global_load_dwordx4 v[32:35], v[32:33], off
	v_add_co_u32 v84, s0, v76, s10
	v_mad_u64_u32 v[66:67], null, 0x500, s9, v[38:39]
	global_load_dwordx4 v[36:39], v[36:37], off offset:1792
	s_clause 0x3
	global_load_dwordx4 v[40:43], v[40:41], off
	global_load_dwordx4 v[44:47], v[44:45], off
	;; [unrolled: 1-line block ×6, first 2 shown]
	v_mov_b32_e32 v77, v66
	global_load_dwordx4 v[64:67], v[64:65], off
	v_add_co_ci_u32_e64 v85, s0, s7, v77, s0
	s_clause 0x1
	global_load_dwordx4 v[68:71], v[72:73], off offset:384
	global_load_dwordx4 v[72:75], v[72:73], off offset:1664
	global_load_dwordx4 v[76:79], v[76:77], off
	global_load_dwordx4 v[80:83], v[80:81], off offset:256
	global_load_dwordx4 v[84:87], v[84:85], off
	s_waitcnt vmcnt(14)
	v_mul_f64 v[90:91], v[30:31], v[18:19]
	s_waitcnt vmcnt(13)
	v_mul_f64 v[88:89], v[34:35], v[2:3]
	v_mul_f64 v[2:3], v[32:33], v[2:3]
	;; [unrolled: 1-line block ×3, first 2 shown]
	s_waitcnt vmcnt(11)
	v_mul_f64 v[92:93], v[42:43], v[6:7]
	v_mul_f64 v[6:7], v[40:41], v[6:7]
	s_waitcnt vmcnt(10)
	v_mul_f64 v[94:95], v[46:47], v[10:11]
	v_mul_f64 v[10:11], v[44:45], v[10:11]
	;; [unrolled: 3-line block ×9, first 2 shown]
	v_fma_f64 v[32:33], v[32:33], v[0:1], v[88:89]
	v_fma_f64 v[34:35], v[34:35], v[0:1], -v[2:3]
	v_fma_f64 v[0:1], v[28:29], v[16:17], v[90:91]
	v_fma_f64 v[2:3], v[30:31], v[16:17], -v[18:19]
	;; [unrolled: 2-line block ×11, first 2 shown]
	ds_write_b128 v193, v[32:35]
	ds_write_b128 v193, v[14:17] offset:640
	ds_write_b128 v193, v[4:7] offset:1280
	;; [unrolled: 1-line block ×10, first 2 shown]
.LBB0_3:
	s_or_b32 exec_lo, exec_lo, s1
	s_load_dwordx2 s[0:1], s[4:5], 0x20
	s_waitcnt lgkmcnt(0)
	s_barrier
	buffer_gl0_inv
                                        ; implicit-def: $vgpr4_vgpr5
                                        ; implicit-def: $vgpr40_vgpr41
                                        ; implicit-def: $vgpr28_vgpr29
                                        ; implicit-def: $vgpr20_vgpr21
                                        ; implicit-def: $vgpr16_vgpr17
                                        ; implicit-def: $vgpr12_vgpr13
                                        ; implicit-def: $vgpr8_vgpr9
                                        ; implicit-def: $vgpr24_vgpr25
                                        ; implicit-def: $vgpr32_vgpr33
                                        ; implicit-def: $vgpr36_vgpr37
                                        ; implicit-def: $vgpr44_vgpr45
	s_and_saveexec_b32 s2, vcc_lo
	s_cbranch_execz .LBB0_5
; %bb.4:
	ds_read_b128 v[4:7], v193
	ds_read_b128 v[44:47], v193 offset:640
	ds_read_b128 v[40:43], v193 offset:1280
	;; [unrolled: 1-line block ×10, first 2 shown]
.LBB0_5:
	s_or_b32 exec_lo, exec_lo, s2
	s_waitcnt lgkmcnt(0)
	v_add_f64 v[62:63], v[46:47], -v[10:11]
	v_add_f64 v[52:53], v[44:45], -v[8:9]
	s_mov_b32 s6, 0xf8bb580b
	s_mov_b32 s8, 0x8eee2c13
	;; [unrolled: 1-line block ×6, first 2 shown]
	v_add_f64 v[48:49], v[8:9], v[44:45]
	v_add_f64 v[76:77], v[10:11], v[46:47]
	v_add_f64 v[58:59], v[42:43], -v[14:15]
	v_add_f64 v[54:55], v[40:41], -v[12:13]
	s_mov_b32 s10, 0x8764f0ba
	s_mov_b32 s16, 0xd9c712b6
	;; [unrolled: 1-line block ×10, first 2 shown]
	v_mul_f64 v[72:73], v[62:63], s[6:7]
	v_mul_f64 v[78:79], v[52:53], s[6:7]
	;; [unrolled: 1-line block ×6, first 2 shown]
	v_add_f64 v[50:51], v[40:41], v[12:13]
	v_add_f64 v[74:75], v[42:43], v[14:15]
	v_add_f64 v[60:61], v[38:39], -v[18:19]
	v_add_f64 v[56:57], v[36:37], -v[16:17]
	v_mul_f64 v[102:103], v[58:59], s[8:9]
	v_mul_f64 v[110:111], v[54:55], s[8:9]
	;; [unrolled: 1-line block ×6, first 2 shown]
	s_mov_b32 s30, 0x7f775887
	s_mov_b32 s26, 0x9bcd5057
	;; [unrolled: 1-line block ×6, first 2 shown]
	v_fma_f64 v[0:1], v[48:49], s[10:11], v[72:73]
	v_fma_f64 v[2:3], v[76:77], s[10:11], -v[78:79]
	v_fma_f64 v[64:65], v[48:49], s[16:17], v[96:97]
	v_fma_f64 v[66:67], v[76:77], s[16:17], -v[100:101]
	;; [unrolled: 2-line block ×3, first 2 shown]
	v_add_f64 v[82:83], v[16:17], v[36:37]
	v_add_f64 v[92:93], v[18:19], v[38:39]
	v_add_f64 v[84:85], v[34:35], -v[22:23]
	v_add_f64 v[80:81], v[32:33], -v[20:21]
	v_mul_f64 v[98:99], v[60:61], s[18:19]
	v_mul_f64 v[104:105], v[56:57], s[18:19]
	;; [unrolled: 1-line block ×4, first 2 shown]
	v_fma_f64 v[90:91], v[50:51], s[16:17], v[102:103]
	v_fma_f64 v[117:118], v[74:75], s[16:17], -v[110:111]
	v_fma_f64 v[123:124], v[50:51], s[30:31], v[119:120]
	v_fma_f64 v[127:128], v[74:75], s[30:31], -v[125:126]
	v_mul_f64 v[131:132], v[60:61], s[20:21]
	v_fma_f64 v[135:136], v[50:51], s[26:27], v[121:122]
	v_mul_f64 v[143:144], v[56:57], s[20:21]
	v_fma_f64 v[141:142], v[74:75], s[26:27], -v[139:140]
	v_add_f64 v[0:1], v[4:5], v[0:1]
	v_add_f64 v[2:3], v[6:7], v[2:3]
	;; [unrolled: 1-line block ×6, first 2 shown]
	s_mov_b32 s35, 0x3fefac9e
	s_mov_b32 s34, s18
	v_add_f64 v[86:87], v[20:21], v[32:33]
	v_add_f64 v[149:150], v[22:23], v[34:35]
	v_add_f64 v[88:89], v[30:31], -v[26:27]
	v_add_f64 v[94:95], v[28:29], -v[24:25]
	v_mul_f64 v[106:107], v[84:85], s[36:37]
	v_mul_f64 v[113:114], v[80:81], s[36:37]
	v_fma_f64 v[147:148], v[82:83], s[24:25], v[98:99]
	v_fma_f64 v[157:158], v[92:93], s[24:25], -v[104:105]
	v_fma_f64 v[159:160], v[82:83], s[26:27], v[108:109]
	v_fma_f64 v[161:162], v[92:93], s[26:27], -v[115:116]
	v_mul_f64 v[129:130], v[84:85], s[34:35]
	v_mul_f64 v[133:134], v[80:81], s[34:35]
	;; [unrolled: 1-line block ×3, first 2 shown]
	v_fma_f64 v[163:164], v[82:83], s[16:17], v[131:132]
	v_add_f64 v[0:1], v[90:91], v[0:1]
	v_add_f64 v[2:3], v[117:118], v[2:3]
	;; [unrolled: 1-line block ×5, first 2 shown]
	v_mul_f64 v[145:146], v[80:81], s[6:7]
	v_fma_f64 v[165:166], v[92:93], s[16:17], -v[143:144]
	v_add_f64 v[70:71], v[141:142], v[70:71]
	s_mov_b32 s23, 0xbfd207e7
	s_mov_b32 s39, 0x3fe14ced
	;; [unrolled: 1-line block ×4, first 2 shown]
	v_add_f64 v[90:91], v[28:29], v[24:25]
	v_add_f64 v[155:156], v[30:31], v[26:27]
	v_mul_f64 v[117:118], v[88:89], s[22:23]
	v_mul_f64 v[123:124], v[94:95], s[22:23]
	;; [unrolled: 1-line block ×3, first 2 shown]
	v_fma_f64 v[167:168], v[86:87], s[30:31], v[106:107]
	v_fma_f64 v[169:170], v[149:150], s[30:31], -v[113:114]
	v_mul_f64 v[135:136], v[94:95], s[38:39]
	v_mul_f64 v[141:142], v[88:89], s[36:37]
	s_load_dwordx2 s[2:3], s[4:5], 0x8
	v_add_f64 v[0:1], v[147:148], v[0:1]
	v_add_f64 v[2:3], v[157:158], v[2:3]
	;; [unrolled: 1-line block ×4, first 2 shown]
	v_mul_f64 v[147:148], v[94:95], s[36:37]
	v_fma_f64 v[157:158], v[86:87], s[24:25], v[129:130]
	v_fma_f64 v[159:160], v[149:150], s[24:25], -v[133:134]
	v_add_f64 v[68:69], v[163:164], v[68:69]
	v_fma_f64 v[161:162], v[86:87], s[10:11], v[137:138]
	v_fma_f64 v[163:164], v[149:150], s[10:11], -v[145:146]
	v_add_f64 v[70:71], v[165:166], v[70:71]
	v_mul_lo_u16 v196, v195, 11
	s_waitcnt lgkmcnt(0)
	s_barrier
	v_fma_f64 v[165:166], v[90:91], s[26:27], v[117:118]
	v_fma_f64 v[171:172], v[155:156], s[26:27], -v[123:124]
	v_fma_f64 v[173:174], v[90:91], s[10:11], v[127:128]
	buffer_gl0_inv
	v_fma_f64 v[175:176], v[155:156], s[10:11], -v[135:136]
	v_fma_f64 v[177:178], v[90:91], s[30:31], v[141:142]
	v_add_f64 v[0:1], v[167:168], v[0:1]
	v_add_f64 v[2:3], v[169:170], v[2:3]
	v_fma_f64 v[179:180], v[155:156], s[30:31], -v[147:148]
	v_add_f64 v[64:65], v[157:158], v[64:65]
	v_add_f64 v[66:67], v[159:160], v[66:67]
	;; [unrolled: 1-line block ×10, first 2 shown]
	s_and_saveexec_b32 s4, vcc_lo
	s_cbranch_execz .LBB0_7
; %bb.6:
	v_add_f64 v[46:47], v[6:7], v[46:47]
	v_mul_f64 v[159:160], v[62:63], s[22:23]
	v_add_f64 v[44:45], v[4:5], v[44:45]
	v_mul_f64 v[157:158], v[76:77], s[26:27]
	v_mul_f64 v[163:164], v[58:59], s[38:39]
	;; [unrolled: 1-line block ×14, first 2 shown]
	s_mov_b32 s41, 0x3fe82f19
	s_mov_b32 s40, s36
	v_mul_f64 v[197:198], v[149:150], s[16:17]
	v_mul_f64 v[181:182], v[50:51], s[16:17]
	;; [unrolled: 1-line block ×3, first 2 shown]
	v_add_f64 v[42:43], v[42:43], v[46:47]
	v_fma_f64 v[46:47], v[48:49], s[26:27], v[159:160]
	v_fma_f64 v[159:160], v[48:49], s[26:27], -v[159:160]
	v_add_f64 v[40:41], v[40:41], v[44:45]
	v_fma_f64 v[44:45], v[52:53], s[28:29], v[157:158]
	v_fma_f64 v[157:158], v[52:53], s[22:23], v[157:158]
	;; [unrolled: 1-line block ×3, first 2 shown]
	v_fma_f64 v[163:164], v[50:51], s[10:11], -v[163:164]
	v_fma_f64 v[207:208], v[54:55], s[6:7], v[161:162]
	v_fma_f64 v[161:162], v[54:55], s[38:39], v[161:162]
	;; [unrolled: 1-line block ×3, first 2 shown]
	v_fma_f64 v[179:180], v[82:83], s[30:31], -v[179:180]
	v_fma_f64 v[229:230], v[56:57], s[40:41], v[175:176]
	v_fma_f64 v[175:176], v[56:57], s[36:37], v[175:176]
	v_mul_f64 v[187:188], v[74:75], s[30:31]
	v_mul_f64 v[191:192], v[74:75], s[26:27]
	v_mul_f64 v[74:75], v[74:75], s[24:25]
	v_add_f64 v[100:101], v[100:101], v[171:172]
	v_add_f64 v[96:97], v[169:170], -v[96:97]
	v_add_f64 v[78:79], v[78:79], v[167:168]
	v_add_f64 v[72:73], v[165:166], -v[72:73]
	v_fma_f64 v[165:166], v[86:87], s[16:17], -v[199:200]
	v_add_f64 v[38:39], v[38:39], v[42:43]
	v_add_f64 v[42:43], v[4:5], v[46:47]
	;; [unrolled: 1-line block ×6, first 2 shown]
	v_mul_f64 v[185:186], v[50:51], s[30:31]
	v_mul_f64 v[189:190], v[50:51], s[26:27]
	;; [unrolled: 1-line block ×7, first 2 shown]
	v_add_f64 v[110:111], v[110:111], v[183:184]
	v_add_f64 v[102:103], v[181:182], -v[102:103]
	v_mul_f64 v[205:206], v[82:83], s[26:27]
	v_fma_f64 v[167:168], v[54:55], s[18:19], v[74:75]
	v_fma_f64 v[54:55], v[54:55], s[34:35], v[74:75]
	v_add_f64 v[100:101], v[6:7], v[100:101]
	v_add_f64 v[96:97], v[4:5], v[96:97]
	v_mul_f64 v[159:160], v[82:83], s[16:17]
	v_mul_f64 v[213:214], v[86:87], s[30:31]
	v_add_f64 v[34:35], v[34:35], v[38:39]
	v_add_f64 v[38:39], v[209:210], v[42:43]
	;; [unrolled: 1-line block ×6, first 2 shown]
	v_mul_f64 v[44:45], v[58:59], s[34:35]
	v_fma_f64 v[58:59], v[52:53], s[40:41], v[177:178]
	v_fma_f64 v[52:53], v[52:53], s[36:37], v[177:178]
	;; [unrolled: 1-line block ×3, first 2 shown]
	v_fma_f64 v[48:49], v[48:49], s[30:31], -v[62:63]
	v_add_f64 v[62:63], v[153:154], v[76:77]
	v_add_f64 v[76:77], v[173:174], -v[151:152]
	v_fma_f64 v[153:154], v[86:87], s[16:17], v[199:200]
	v_fma_f64 v[151:152], v[80:81], s[8:9], v[197:198]
	;; [unrolled: 1-line block ×3, first 2 shown]
	v_add_f64 v[119:120], v[185:186], -v[119:120]
	v_add_f64 v[121:122], v[189:190], -v[121:122]
	v_mul_f64 v[215:216], v[149:150], s[30:31]
	v_mul_f64 v[219:220], v[149:150], s[24:25]
	;; [unrolled: 1-line block ×3, first 2 shown]
	v_add_f64 v[115:116], v[115:116], v[157:158]
	v_add_f64 v[30:31], v[30:31], v[34:35]
	;; [unrolled: 1-line block ×7, first 2 shown]
	v_mul_f64 v[40:41], v[149:150], s[26:27]
	v_add_f64 v[58:59], v[6:7], v[58:59]
	v_add_f64 v[52:53], v[6:7], v[52:53]
	;; [unrolled: 1-line block ×10, first 2 shown]
	v_add_f64 v[98:99], v[201:202], -v[98:99]
	v_mul_f64 v[217:218], v[86:87], s[24:25]
	v_add_f64 v[96:97], v[119:120], v[96:97]
	v_mul_f64 v[221:222], v[86:87], s[10:11]
	v_mul_f64 v[84:85], v[84:85], s[22:23]
	v_add_f64 v[26:27], v[26:27], v[30:31]
	v_add_f64 v[30:31], v[153:154], v[34:35]
	;; [unrolled: 1-line block ×7, first 2 shown]
	v_mul_f64 v[36:37], v[60:61], s[6:7]
	v_fma_f64 v[163:164], v[50:51], s[24:25], -v[44:45]
	v_fma_f64 v[44:45], v[50:51], s[24:25], v[44:45]
	v_add_f64 v[58:59], v[167:168], v[58:59]
	v_fma_f64 v[50:51], v[56:57], s[38:39], v[92:93]
	v_fma_f64 v[56:57], v[56:57], s[6:7], v[92:93]
	v_add_f64 v[52:53], v[54:55], v[52:53]
	v_add_f64 v[92:93], v[143:144], v[211:212]
	;; [unrolled: 1-line block ×5, first 2 shown]
	v_add_f64 v[100:101], v[205:206], -v[108:109]
	v_add_f64 v[76:77], v[121:122], v[76:77]
	v_mul_f64 v[223:224], v[155:156], s[24:25]
	v_mul_f64 v[225:226], v[88:89], s[18:19]
	v_add_f64 v[22:23], v[22:23], v[26:27]
	v_mul_f64 v[46:47], v[90:91], s[26:27]
	v_mul_f64 v[42:43], v[155:156], s[26:27]
	v_add_f64 v[38:39], v[38:39], v[62:63]
	v_add_f64 v[62:63], v[159:160], -v[131:132]
	v_add_f64 v[20:21], v[20:21], v[24:25]
	v_mul_f64 v[60:61], v[155:156], s[10:11]
	v_fma_f64 v[54:55], v[82:83], s[10:11], -v[36:37]
	v_add_f64 v[48:49], v[163:164], v[48:49]
	v_fma_f64 v[36:37], v[82:83], s[10:11], v[36:37]
	v_add_f64 v[24:25], v[44:45], v[74:75]
	v_mul_f64 v[78:79], v[90:91], s[30:31]
	v_fma_f64 v[165:166], v[80:81], s[28:29], v[40:41]
	v_add_f64 v[26:27], v[50:51], v[58:59]
	v_mul_f64 v[44:45], v[88:89], s[20:21]
	v_fma_f64 v[40:41], v[80:81], s[22:23], v[40:41]
	v_add_f64 v[50:51], v[56:57], v[52:53]
	v_add_f64 v[56:57], v[145:146], v[227:228]
	;; [unrolled: 1-line block ×6, first 2 shown]
	v_add_f64 v[88:89], v[213:214], -v[106:107]
	v_add_f64 v[4:5], v[98:99], v[4:5]
	v_mul_f64 v[149:150], v[90:91], s[10:11]
	v_add_f64 v[38:39], v[92:93], v[38:39]
	v_mul_f64 v[125:126], v[155:156], s[30:31]
	v_mul_f64 v[155:156], v[155:156], s[16:17]
	v_add_f64 v[80:81], v[217:218], -v[129:130]
	v_add_f64 v[92:93], v[100:101], v[96:97]
	v_add_f64 v[58:59], v[221:222], -v[137:138]
	v_add_f64 v[62:63], v[62:63], v[76:77]
	v_fma_f64 v[52:53], v[86:87], s[26:27], -v[84:85]
	v_add_f64 v[48:49], v[54:55], v[48:49]
	v_add_f64 v[18:19], v[18:19], v[22:23]
	;; [unrolled: 1-line block ×3, first 2 shown]
	v_fma_f64 v[54:55], v[86:87], s[26:27], v[84:85]
	v_add_f64 v[20:21], v[36:37], v[24:25]
	v_fma_f64 v[139:140], v[94:95], s[34:35], v[223:224]
	v_fma_f64 v[151:152], v[90:91], s[24:25], v[225:226]
	v_add_f64 v[24:25], v[40:41], v[50:51]
	v_add_f64 v[50:51], v[78:79], -v[141:142]
	v_add_f64 v[42:43], v[123:124], v[42:43]
	v_add_f64 v[46:47], v[46:47], -v[117:118]
	v_add_f64 v[76:77], v[165:166], v[26:27]
	v_add_f64 v[78:79], v[88:89], v[4:5]
	v_fma_f64 v[40:41], v[90:91], s[16:17], -v[44:45]
	v_add_f64 v[38:39], v[56:57], v[38:39]
	v_add_f64 v[56:57], v[135:136], v[60:61]
	;; [unrolled: 1-line block ×4, first 2 shown]
	v_fma_f64 v[22:23], v[94:95], s[20:21], v[155:156]
	v_add_f64 v[26:27], v[147:148], v[125:126]
	v_add_f64 v[72:73], v[149:150], -v[127:128]
	v_add_f64 v[80:81], v[80:81], v[92:93]
	v_add_f64 v[58:59], v[58:59], v[62:63]
	;; [unrolled: 1-line block ×3, first 2 shown]
	v_fma_f64 v[153:154], v[94:95], s[18:19], v[223:224]
	v_fma_f64 v[161:162], v[90:91], s[24:25], -v[225:226]
	v_add_f64 v[52:53], v[14:15], v[18:19]
	v_add_f64 v[62:63], v[12:13], v[16:17]
	v_fma_f64 v[36:37], v[94:95], s[8:9], v[155:156]
	v_fma_f64 v[44:45], v[90:91], s[16:17], v[44:45]
	v_add_f64 v[54:55], v[54:55], v[20:21]
	v_add_f64 v[6:7], v[139:140], v[28:29]
	;; [unrolled: 1-line block ×16, first 2 shown]
	v_mov_b32_e32 v36, 4
	v_add_f64 v[32:33], v[44:45], v[54:55]
	v_lshlrev_b32_sdwa v36, v36, v196 dst_sel:DWORD dst_unused:UNUSED_PAD src0_sel:DWORD src1_sel:WORD_0
	ds_write_b128 v36, v[28:31] offset:16
	ds_write_b128 v36, v[24:27] offset:32
	;; [unrolled: 1-line block ×6, first 2 shown]
	ds_write_b128 v36, v[8:11]
	ds_write_b128 v36, v[32:35] offset:112
	ds_write_b128 v36, v[64:67] offset:128
	ds_write_b128 v36, v[68:71] offset:144
	ds_write_b128 v36, v[0:3] offset:160
.LBB0_7:
	s_or_b32 exec_lo, exec_lo, s4
	v_and_b32_e32 v4, 0xff, v195
	s_load_dwordx4 s[4:7], s[0:1], 0x0
	s_waitcnt lgkmcnt(0)
	s_barrier
	buffer_gl0_inv
	v_mul_lo_u16 v4, 0x75, v4
	s_mov_b32 s0, 0x667f3bcd
	s_mov_b32 s1, 0xbfe6a09e
	;; [unrolled: 1-line block ×4, first 2 shown]
	v_lshrrev_b16 v4, 8, v4
	v_sub_nc_u16 v5, v195, v4
	v_lshrrev_b16 v5, 1, v5
	v_and_b32_e32 v5, 0x7f, v5
	v_add_nc_u16 v4, v5, v4
	v_lshrrev_b16 v100, 3, v4
	v_mul_lo_u16 v4, v100, 11
	v_sub_nc_u16 v4, v195, v4
	v_and_b32_e32 v101, 0xff, v4
	v_mad_u64_u32 v[4:5], null, 0x70, v101, s[2:3]
	s_clause 0x6
	global_load_dwordx4 v[28:31], v[4:5], off
	global_load_dwordx4 v[24:27], v[4:5], off offset:16
	global_load_dwordx4 v[20:23], v[4:5], off offset:48
	;; [unrolled: 1-line block ×6, first 2 shown]
	ds_read_b128 v[4:7], v193 offset:880
	ds_read_b128 v[8:11], v193 offset:1760
	;; [unrolled: 1-line block ×7, first 2 shown]
	ds_read_b128 v[60:63], v193
	s_waitcnt vmcnt(0) lgkmcnt(0)
	s_barrier
	buffer_gl0_inv
	v_mul_f64 v[72:73], v[6:7], v[30:31]
	v_mul_f64 v[74:75], v[4:5], v[30:31]
	;; [unrolled: 1-line block ×14, first 2 shown]
	v_fma_f64 v[4:5], v[4:5], v[28:29], -v[72:73]
	v_fma_f64 v[6:7], v[6:7], v[28:29], v[74:75]
	v_fma_f64 v[8:9], v[8:9], v[24:25], -v[76:77]
	v_fma_f64 v[10:11], v[10:11], v[24:25], v[78:79]
	;; [unrolled: 2-line block ×7, first 2 shown]
	v_add_f64 v[12:13], v[60:61], -v[12:13]
	v_add_f64 v[14:15], v[62:63], -v[14:15]
	;; [unrolled: 1-line block ×8, first 2 shown]
	v_fma_f64 v[60:61], v[60:61], 2.0, -v[12:13]
	v_fma_f64 v[62:63], v[62:63], 2.0, -v[14:15]
	;; [unrolled: 1-line block ×6, first 2 shown]
	v_add_f64 v[18:19], v[12:13], -v[18:19]
	v_add_f64 v[16:17], v[14:15], v[16:17]
	v_fma_f64 v[52:53], v[52:53], 2.0, -v[56:57]
	v_fma_f64 v[54:55], v[54:55], 2.0, -v[58:59]
	v_add_f64 v[58:59], v[48:49], -v[58:59]
	v_add_f64 v[56:57], v[50:51], v[56:57]
	v_add_f64 v[8:9], v[60:61], -v[8:9]
	v_add_f64 v[10:11], v[62:63], -v[10:11]
	v_fma_f64 v[76:77], v[12:13], 2.0, -v[18:19]
	v_fma_f64 v[78:79], v[14:15], 2.0, -v[16:17]
	v_add_f64 v[12:13], v[4:5], -v[52:53]
	v_add_f64 v[14:15], v[6:7], -v[54:55]
	v_fma_f64 v[48:49], v[48:49], 2.0, -v[58:59]
	v_fma_f64 v[50:51], v[50:51], 2.0, -v[56:57]
	v_fma_f64 v[52:53], v[58:59], s[8:9], v[18:19]
	v_fma_f64 v[54:55], v[56:57], s[8:9], v[16:17]
	v_fma_f64 v[60:61], v[60:61], 2.0, -v[8:9]
	v_fma_f64 v[62:63], v[62:63], 2.0, -v[10:11]
	;; [unrolled: 1-line block ×4, first 2 shown]
	v_fma_f64 v[72:73], v[48:49], s[0:1], v[76:77]
	v_fma_f64 v[74:75], v[50:51], s[0:1], v[78:79]
	v_add_f64 v[80:81], v[8:9], -v[14:15]
	v_add_f64 v[82:83], v[10:11], v[12:13]
	v_fma_f64 v[84:85], v[56:57], s[0:1], v[52:53]
	v_fma_f64 v[86:87], v[58:59], s[8:9], v[54:55]
	v_mov_b32_e32 v52, 0x58
	v_mul_u32_u24_sdwa v52, v100, v52 dst_sel:DWORD dst_unused:UNUSED_PAD src0_sel:WORD_0 src1_sel:DWORD
	v_add_lshl_u32 v197, v52, v101, 4
	v_add_f64 v[4:5], v[60:61], -v[4:5]
	v_add_f64 v[6:7], v[62:63], -v[6:7]
	v_fma_f64 v[72:73], v[50:51], s[0:1], v[72:73]
	v_fma_f64 v[74:75], v[48:49], s[8:9], v[74:75]
	v_fma_f64 v[8:9], v[8:9], 2.0, -v[80:81]
	v_fma_f64 v[10:11], v[10:11], 2.0, -v[82:83]
	;; [unrolled: 1-line block ×4, first 2 shown]
	v_cmp_gt_u16_e64 s0, 33, v195
	v_fma_f64 v[16:17], v[60:61], 2.0, -v[4:5]
	v_fma_f64 v[18:19], v[62:63], 2.0, -v[6:7]
	;; [unrolled: 1-line block ×4, first 2 shown]
	ds_write_b128 v197, v[80:83] offset:1056
	ds_write_b128 v197, v[84:87] offset:1232
	;; [unrolled: 1-line block ×6, first 2 shown]
	ds_write_b128 v197, v[16:19]
	ds_write_b128 v197, v[48:51] offset:176
	s_waitcnt lgkmcnt(0)
	s_barrier
	buffer_gl0_inv
	ds_read_b128 v[76:79], v193
	ds_read_b128 v[100:103], v193 offset:1408
	ds_read_b128 v[96:99], v193 offset:2816
	;; [unrolled: 1-line block ×4, first 2 shown]
	s_and_saveexec_b32 s1, s0
	s_cbranch_execz .LBB0_9
; %bb.8:
	ds_read_b128 v[72:75], v193 offset:880
	ds_read_b128 v[80:83], v193 offset:2288
	;; [unrolled: 1-line block ×5, first 2 shown]
.LBB0_9:
	s_or_b32 exec_lo, exec_lo, s1
	v_add_co_u32 v4, s1, v195, 55
	v_add_co_ci_u32_e64 v5, null, 0, 0, s1
	v_add_co_u32 v6, s1, 0xffffffdf, v195
	v_add_co_ci_u32_e64 v7, null, 0, -1, s1
	v_lshlrev_b32_e32 v8, 6, v195
	v_cndmask_b32_e64 v4, v6, v4, s0
	s_mov_b32 s8, 0x134454ff
	v_cndmask_b32_e64 v5, v7, v5, s0
	s_mov_b32 s9, 0x3fee6f0e
	s_clause 0x3
	global_load_dwordx4 v[48:51], v8, s[2:3] offset:1232
	global_load_dwordx4 v[60:63], v8, s[2:3] offset:1248
	;; [unrolled: 1-line block ×4, first 2 shown]
	s_mov_b32 s17, 0xbfee6f0e
	v_lshlrev_b64 v[4:5], 6, v[4:5]
	s_mov_b32 s16, s8
	s_mov_b32 s11, 0xbfe2cf23
	v_add_co_u32 v8, s1, s2, v4
	v_add_co_ci_u32_e64 v9, s1, s3, v5, s1
	s_mov_b32 s2, 0x4755a5e
	s_clause 0x3
	global_load_dwordx4 v[4:7], v[8:9], off offset:1232
	global_load_dwordx4 v[16:19], v[8:9], off offset:1248
	global_load_dwordx4 v[12:15], v[8:9], off offset:1264
	global_load_dwordx4 v[8:11], v[8:9], off offset:1280
	s_mov_b32 s3, 0x3fe2cf23
	s_mov_b32 s10, s2
	s_waitcnt vmcnt(6) lgkmcnt(2)
	v_mul_f64 v[108:109], v[98:99], v[62:63]
	v_mul_f64 v[104:105], v[102:103], v[50:51]
	;; [unrolled: 1-line block ×4, first 2 shown]
	s_waitcnt vmcnt(5) lgkmcnt(1)
	v_mul_f64 v[113:114], v[90:91], v[58:59]
	s_waitcnt vmcnt(4) lgkmcnt(0)
	v_mul_f64 v[115:116], v[92:93], v[54:55]
	v_mul_f64 v[117:118], v[88:89], v[58:59]
	;; [unrolled: 1-line block ×3, first 2 shown]
	s_waitcnt vmcnt(3)
	v_mul_f64 v[121:122], v[82:83], v[6:7]
	v_mul_f64 v[123:124], v[80:81], v[6:7]
	s_waitcnt vmcnt(2)
	v_mul_f64 v[125:126], v[86:87], v[18:19]
	v_mul_f64 v[127:128], v[84:85], v[18:19]
	;; [unrolled: 3-line block ×4, first 2 shown]
	v_fma_f64 v[96:97], v[96:97], v[60:61], -v[108:109]
	v_fma_f64 v[100:101], v[100:101], v[48:49], -v[104:105]
	v_fma_f64 v[102:103], v[102:103], v[48:49], v[106:107]
	v_fma_f64 v[98:99], v[98:99], v[60:61], v[110:111]
	v_fma_f64 v[88:89], v[88:89], v[56:57], -v[113:114]
	v_fma_f64 v[94:95], v[94:95], v[52:53], v[115:116]
	v_fma_f64 v[90:91], v[90:91], v[56:57], v[117:118]
	v_fma_f64 v[92:93], v[92:93], v[52:53], -v[119:120]
	v_fma_f64 v[80:81], v[80:81], v[4:5], -v[121:122]
	v_fma_f64 v[82:83], v[82:83], v[4:5], v[123:124]
	v_fma_f64 v[84:85], v[84:85], v[16:17], -v[125:126]
	v_fma_f64 v[86:87], v[86:87], v[16:17], v[127:128]
	;; [unrolled: 2-line block ×4, first 2 shown]
	v_add_f64 v[104:105], v[76:77], v[100:101]
	v_add_f64 v[113:114], v[100:101], -v[96:97]
	v_add_f64 v[119:120], v[96:97], -v[100:101]
	v_add_f64 v[106:107], v[96:97], v[88:89]
	v_add_f64 v[133:134], v[102:103], v[94:95]
	;; [unrolled: 1-line block ×3, first 2 shown]
	v_add_f64 v[115:116], v[92:93], -v[88:89]
	v_add_f64 v[117:118], v[100:101], v[92:93]
	v_add_f64 v[108:109], v[102:103], -v[94:95]
	v_add_f64 v[110:111], v[98:99], -v[90:91]
	;; [unrolled: 1-line block ×3, first 2 shown]
	v_add_f64 v[123:124], v[78:79], v[102:103]
	v_add_f64 v[100:101], v[100:101], -v[92:93]
	v_add_f64 v[127:128], v[96:97], -v[88:89]
	;; [unrolled: 1-line block ×5, first 2 shown]
	v_add_f64 v[137:138], v[84:85], v[64:65]
	v_add_f64 v[145:146], v[86:87], v[66:67]
	;; [unrolled: 1-line block ×4, first 2 shown]
	v_add_f64 v[135:136], v[90:91], -v[94:95]
	v_add_f64 v[139:140], v[72:73], v[80:81]
	v_add_f64 v[143:144], v[82:83], -v[70:71]
	v_add_f64 v[147:148], v[86:87], -v[66:67]
	;; [unrolled: 1-line block ×5, first 2 shown]
	v_add_f64 v[159:160], v[74:75], v[82:83]
	v_add_f64 v[80:81], v[80:81], -v[68:69]
	v_add_f64 v[161:162], v[84:85], -v[64:65]
	v_fma_f64 v[106:107], v[106:107], -0.5, v[76:77]
	v_fma_f64 v[76:77], v[117:118], -0.5, v[76:77]
	;; [unrolled: 1-line block ×4, first 2 shown]
	v_add_f64 v[96:97], v[104:105], v[96:97]
	v_add_f64 v[104:105], v[113:114], v[115:116]
	v_add_f64 v[157:158], v[64:65], -v[68:69]
	v_add_f64 v[163:164], v[82:83], -v[86:87]
	v_fma_f64 v[137:138], v[137:138], -0.5, v[72:73]
	v_fma_f64 v[113:114], v[145:146], -0.5, v[74:75]
	;; [unrolled: 1-line block ×4, first 2 shown]
	v_add_f64 v[117:118], v[70:71], -v[66:67]
	v_add_f64 v[82:83], v[86:87], -v[82:83]
	;; [unrolled: 1-line block ×3, first 2 shown]
	v_add_f64 v[115:116], v[119:120], v[121:122]
	v_add_f64 v[98:99], v[123:124], v[98:99]
	;; [unrolled: 1-line block ×7, first 2 shown]
	v_fma_f64 v[129:130], v[108:109], s[8:9], v[106:107]
	v_fma_f64 v[106:107], v[108:109], s[16:17], v[106:107]
	;; [unrolled: 1-line block ×16, first 2 shown]
	v_add_f64 v[123:124], v[155:156], v[157:158]
	v_add_f64 v[117:118], v[163:164], v[117:118]
	;; [unrolled: 1-line block ×7, first 2 shown]
	v_fma_f64 v[96:97], v[110:111], s[2:3], v[129:130]
	v_fma_f64 v[98:99], v[110:111], s[10:11], v[106:107]
	;; [unrolled: 1-line block ×16, first 2 shown]
	s_mov_b32 s2, 0x372fe950
	s_mov_b32 s3, 0x3fd3c6ef
	v_add_f64 v[64:65], v[88:89], v[92:93]
	v_add_f64 v[66:67], v[90:91], v[94:95]
	v_add_f64 v[92:93], v[84:85], v[68:69]
	v_add_f64 v[94:95], v[86:87], v[70:71]
	v_fma_f64 v[108:109], v[104:105], s[2:3], v[96:97]
	v_fma_f64 v[96:97], v[104:105], s[2:3], v[98:99]
	;; [unrolled: 1-line block ×16, first 2 shown]
	ds_write_b128 v193, v[64:67]
	ds_write_b128 v193, v[108:111] offset:1408
	ds_write_b128 v193, v[104:107] offset:2816
	;; [unrolled: 1-line block ×4, first 2 shown]
	s_and_saveexec_b32 s1, s0
	s_cbranch_execz .LBB0_11
; %bb.10:
	ds_write_b128 v193, v[92:95] offset:880
	ds_write_b128 v193, v[88:91] offset:2288
	;; [unrolled: 1-line block ×5, first 2 shown]
.LBB0_11:
	s_or_b32 exec_lo, exec_lo, s1
	s_waitcnt lgkmcnt(0)
	s_barrier
	buffer_gl0_inv
	s_and_saveexec_b32 s8, vcc_lo
	s_cbranch_execz .LBB0_13
; %bb.12:
	s_add_u32 s2, s14, 0x1b80
	s_addc_u32 s3, s15, 0
	v_add_co_u32 v137, s1, s2, v193
	v_add_co_ci_u32_e64 v138, null, s3, 0, s1
	global_load_dwordx4 v[68:71], v193, s[2:3]
	v_add_co_u32 v129, s1, 0x800, v137
	v_add_co_ci_u32_e64 v130, s1, 0, v138, s1
	s_clause 0x1
	global_load_dwordx4 v[72:75], v193, s[2:3] offset:640
	global_load_dwordx4 v[113:116], v193, s[2:3] offset:1280
	v_add_co_u32 v141, s1, 0x1000, v137
	v_or_b32_e32 v133, 0x1400, v193
	s_clause 0x4
	global_load_dwordx4 v[117:120], v193, s[2:3] offset:1920
	global_load_dwordx4 v[121:124], v[129:130], off offset:512
	global_load_dwordx4 v[125:128], v[129:130], off offset:1152
	;; [unrolled: 1-line block ×3, first 2 shown]
	global_load_dwordx4 v[133:136], v133, s[2:3]
	v_add_co_ci_u32_e64 v142, s1, 0, v138, s1
	v_add_co_u32 v145, s1, 0x1800, v137
	v_add_co_ci_u32_e64 v146, s1, 0, v138, s1
	s_clause 0x2
	global_load_dwordx4 v[137:140], v[141:142], off offset:384
	global_load_dwordx4 v[141:144], v[141:142], off offset:1664
	;; [unrolled: 1-line block ×3, first 2 shown]
	ds_read_b128 v[149:152], v193
	ds_read_b128 v[153:156], v193 offset:640
	ds_read_b128 v[157:160], v193 offset:1280
	;; [unrolled: 1-line block ×10, first 2 shown]
	s_waitcnt vmcnt(10) lgkmcnt(10)
	v_mul_f64 v[198:199], v[151:152], v[70:71]
	v_mul_f64 v[70:71], v[149:150], v[70:71]
	s_waitcnt vmcnt(9) lgkmcnt(9)
	v_mul_f64 v[200:201], v[155:156], v[74:75]
	v_mul_f64 v[74:75], v[153:154], v[74:75]
	;; [unrolled: 3-line block ×5, first 2 shown]
	s_waitcnt lgkmcnt(5)
	v_mul_f64 v[208:209], v[171:172], v[123:124]
	v_mul_f64 v[123:124], v[169:170], v[123:124]
	s_waitcnt lgkmcnt(4)
	v_mul_f64 v[210:211], v[175:176], v[127:128]
	v_mul_f64 v[127:128], v[173:174], v[127:128]
	s_waitcnt lgkmcnt(3)
	v_mul_f64 v[212:213], v[179:180], v[131:132]
	v_mul_f64 v[214:215], v[177:178], v[131:132]
	s_waitcnt vmcnt(2) lgkmcnt(2)
	v_mul_f64 v[216:217], v[183:184], v[139:140]
	v_mul_f64 v[139:140], v[181:182], v[139:140]
	s_waitcnt vmcnt(1) lgkmcnt(1)
	v_mul_f64 v[218:219], v[187:188], v[143:144]
	v_mul_f64 v[143:144], v[185:186], v[143:144]
	;; [unrolled: 3-line block ×3, first 2 shown]
	v_fma_f64 v[147:148], v[149:150], v[68:69], -v[198:199]
	v_fma_f64 v[149:150], v[151:152], v[68:69], v[70:71]
	v_fma_f64 v[68:69], v[153:154], v[72:73], -v[200:201]
	v_fma_f64 v[70:71], v[155:156], v[72:73], v[74:75]
	;; [unrolled: 2-line block ×11, first 2 shown]
	ds_write_b128 v193, v[147:150]
	ds_write_b128 v193, v[68:71] offset:640
	ds_write_b128 v193, v[72:75] offset:1280
	;; [unrolled: 1-line block ×10, first 2 shown]
.LBB0_13:
	s_or_b32 exec_lo, exec_lo, s8
	s_waitcnt lgkmcnt(0)
	s_barrier
	buffer_gl0_inv
	s_and_saveexec_b32 s1, vcc_lo
	s_cbranch_execz .LBB0_15
; %bb.14:
	ds_read_b128 v[64:67], v193
	ds_read_b128 v[108:111], v193 offset:640
	ds_read_b128 v[104:107], v193 offset:1280
	;; [unrolled: 1-line block ×10, first 2 shown]
.LBB0_15:
	s_or_b32 exec_lo, exec_lo, s1
	s_waitcnt lgkmcnt(0)
	v_add_f64 v[141:142], v[110:111], -v[2:3]
	v_add_f64 v[145:146], v[2:3], v[110:111]
	s_mov_b32 s2, 0xd9c712b6
	s_mov_b32 s28, 0x8eee2c13
	;; [unrolled: 1-line block ×6, first 2 shown]
	v_add_f64 v[139:140], v[0:1], v[108:109]
	v_add_f64 v[147:148], v[108:109], -v[0:1]
	v_add_f64 v[119:120], v[106:107], -v[78:79]
	v_add_f64 v[113:114], v[106:107], v[78:79]
	s_mov_b32 s10, 0x7f775887
	s_mov_b32 s20, 0xbb3a28a1
	;; [unrolled: 1-line block ×8, first 2 shown]
	v_add_f64 v[115:116], v[104:105], v[76:77]
	v_add_f64 v[123:124], v[104:105], -v[76:77]
	v_mul_f64 v[165:166], v[141:142], s[28:29]
	v_mul_f64 v[169:170], v[145:146], s[2:3]
	;; [unrolled: 1-line block ×4, first 2 shown]
	v_add_f64 v[129:130], v[102:103], -v[82:83]
	v_add_f64 v[117:118], v[82:83], v[102:103]
	s_mov_b32 s25, 0x3fed1bb4
	s_mov_b32 s24, s28
	v_add_f64 v[121:122], v[80:81], v[100:101]
	v_add_f64 v[133:134], v[100:101], -v[80:81]
	v_mul_f64 v[155:156], v[119:120], s[20:21]
	v_mul_f64 v[157:158], v[113:114], s[10:11]
	;; [unrolled: 1-line block ×4, first 2 shown]
	v_add_f64 v[125:126], v[86:87], v[98:99]
	v_add_f64 v[137:138], v[98:99], -v[86:87]
	s_mov_b32 s22, 0x8764f0ba
	s_mov_b32 s34, 0xf8bb580b
	;; [unrolled: 1-line block ×6, first 2 shown]
	v_fma_f64 v[68:69], v[139:140], s[2:3], -v[165:166]
	v_fma_f64 v[70:71], v[147:148], s[28:29], v[169:170]
	v_fma_f64 v[72:73], v[139:140], s[8:9], -v[167:168]
	v_fma_f64 v[74:75], v[147:148], s[18:19], v[173:174]
	v_mul_f64 v[171:172], v[129:130], s[26:27]
	v_mul_f64 v[175:176], v[117:118], s[16:17]
	;; [unrolled: 1-line block ×4, first 2 shown]
	v_add_f64 v[127:128], v[84:85], v[96:97]
	v_add_f64 v[143:144], v[96:97], -v[84:85]
	v_fma_f64 v[135:136], v[115:116], s[10:11], -v[155:156]
	v_fma_f64 v[159:160], v[123:124], s[20:21], v[157:158]
	v_fma_f64 v[181:182], v[115:116], s[16:17], -v[149:150]
	v_fma_f64 v[183:184], v[123:124], s[26:27], v[151:152]
	v_add_f64 v[131:132], v[94:95], v[90:91]
	v_add_f64 v[153:154], v[94:95], -v[90:91]
	v_mul_f64 v[185:186], v[137:138], s[30:31]
	v_mul_f64 v[187:188], v[125:126], s[8:9]
	v_mul_f64 v[177:178], v[137:138], s[34:35]
	v_mul_f64 v[179:180], v[125:126], s[22:23]
	s_mov_b32 s37, 0x3fe14ced
	s_mov_b32 s36, s34
	v_add_f64 v[68:69], v[64:65], v[68:69]
	v_add_f64 v[70:71], v[66:67], v[70:71]
	;; [unrolled: 1-line block ×4, first 2 shown]
	v_fma_f64 v[198:199], v[121:122], s[16:17], -v[171:172]
	v_fma_f64 v[200:201], v[133:134], s[26:27], v[175:176]
	v_fma_f64 v[202:203], v[121:122], s[2:3], -v[161:162]
	v_fma_f64 v[204:205], v[133:134], s[24:25], v[163:164]
	s_barrier
	buffer_gl0_inv
	v_mul_f64 v[191:192], v[131:132], s[22:23]
	v_mul_f64 v[189:190], v[153:154], s[36:37]
	v_fma_f64 v[206:207], v[127:128], s[8:9], -v[185:186]
	v_fma_f64 v[208:209], v[143:144], s[30:31], v[187:188]
	v_fma_f64 v[210:211], v[127:128], s[22:23], -v[177:178]
	v_fma_f64 v[212:213], v[143:144], s[34:35], v[179:180]
	v_add_f64 v[68:69], v[135:136], v[68:69]
	v_add_f64 v[70:71], v[159:160], v[70:71]
	;; [unrolled: 1-line block ×5, first 2 shown]
	v_add_f64 v[159:160], v[92:93], -v[88:89]
	v_mul_f64 v[181:182], v[153:154], s[20:21]
	v_mul_f64 v[183:184], v[131:132], s[10:11]
	v_add_f64 v[68:69], v[198:199], v[68:69]
	v_add_f64 v[70:71], v[200:201], v[70:71]
	;; [unrolled: 1-line block ×4, first 2 shown]
	v_fma_f64 v[198:199], v[135:136], s[22:23], -v[189:190]
	v_fma_f64 v[200:201], v[159:160], s[36:37], v[191:192]
	v_fma_f64 v[202:203], v[135:136], s[10:11], -v[181:182]
	v_fma_f64 v[204:205], v[159:160], s[20:21], v[183:184]
	v_add_f64 v[68:69], v[206:207], v[68:69]
	v_add_f64 v[70:71], v[208:209], v[70:71]
	;; [unrolled: 1-line block ×8, first 2 shown]
	s_and_saveexec_b32 s1, vcc_lo
	s_cbranch_execz .LBB0_17
; %bb.16:
	v_add_f64 v[110:111], v[66:67], v[110:111]
	v_add_f64 v[108:109], v[64:65], v[108:109]
	;; [unrolled: 1-line block ×8, first 2 shown]
	v_mul_f64 v[102:103], v[141:142], s[34:35]
	v_mul_f64 v[100:101], v[141:142], s[20:21]
	v_add_f64 v[94:95], v[94:95], v[98:99]
	v_add_f64 v[92:93], v[92:93], v[96:97]
	v_fma_f64 v[108:109], v[139:140], s[22:23], v[102:103]
	v_fma_f64 v[106:107], v[139:140], s[10:11], -v[100:101]
	v_fma_f64 v[100:101], v[139:140], s[10:11], v[100:101]
	v_fma_f64 v[102:103], v[139:140], s[22:23], -v[102:103]
	v_add_f64 v[90:91], v[90:91], v[94:95]
	v_add_f64 v[88:89], v[88:89], v[92:93]
	;; [unrolled: 1-line block ×7, first 2 shown]
	v_mul_f64 v[88:89], v[147:148], s[20:21]
	v_mul_f64 v[90:91], v[147:148], s[34:35]
	v_add_f64 v[82:83], v[82:83], v[86:87]
	v_add_f64 v[80:81], v[80:81], v[84:85]
	v_mul_f64 v[84:85], v[123:124], s[26:27]
	v_mul_f64 v[86:87], v[133:134], s[26:27]
	s_mov_b32 s27, 0xbfd207e7
	v_fma_f64 v[94:95], v[145:146], s[10:11], v[88:89]
	v_mul_f64 v[92:93], v[147:148], s[26:27]
	v_mul_f64 v[104:105], v[141:142], s[26:27]
	v_fma_f64 v[88:89], v[145:146], s[10:11], -v[88:89]
	v_fma_f64 v[96:97], v[145:146], s[22:23], -v[90:91]
	v_fma_f64 v[90:91], v[145:146], s[22:23], v[90:91]
	v_mul_f64 v[141:142], v[119:120], s[28:29]
	v_add_f64 v[78:79], v[78:79], v[82:83]
	v_add_f64 v[76:77], v[76:77], v[80:81]
	v_mul_f64 v[80:81], v[139:140], s[2:3]
	v_mul_f64 v[82:83], v[139:140], s[8:9]
	v_add_f64 v[86:87], v[175:176], -v[86:87]
	v_add_f64 v[94:95], v[66:67], v[94:95]
	v_fma_f64 v[98:99], v[145:146], s[16:17], v[92:93]
	v_fma_f64 v[92:93], v[145:146], s[16:17], -v[92:93]
	v_fma_f64 v[110:111], v[139:140], s[16:17], -v[104:105]
	v_fma_f64 v[104:105], v[139:140], s[16:17], v[104:105]
	v_add_f64 v[88:89], v[66:67], v[88:89]
	v_mul_f64 v[145:146], v[129:130], s[18:19]
	v_add_f64 v[2:3], v[2:3], v[78:79]
	v_add_f64 v[0:1], v[0:1], v[76:77]
	v_mul_f64 v[76:77], v[147:148], s[18:19]
	v_mul_f64 v[78:79], v[147:148], s[28:29]
	v_add_f64 v[80:81], v[80:81], v[165:166]
	v_add_f64 v[82:83], v[82:83], v[167:168]
	v_mul_f64 v[147:148], v[143:144], s[20:21]
	v_add_f64 v[92:93], v[66:67], v[92:93]
	v_mul_f64 v[165:166], v[137:138], s[20:21]
	;; [unrolled: 2-line block ×3, first 2 shown]
	v_add_f64 v[76:77], v[173:174], -v[76:77]
	v_add_f64 v[78:79], v[169:170], -v[78:79]
	v_add_f64 v[80:81], v[64:65], v[80:81]
	v_add_f64 v[82:83], v[64:65], v[82:83]
	v_mul_f64 v[169:170], v[153:154], s[26:27]
	v_mul_f64 v[173:174], v[127:128], s[8:9]
	v_add_f64 v[139:140], v[66:67], v[76:77]
	v_add_f64 v[76:77], v[66:67], v[78:79]
	;; [unrolled: 1-line block ×7, first 2 shown]
	v_mul_f64 v[110:111], v[123:124], s[28:29]
	v_fma_f64 v[66:67], v[115:116], s[2:3], v[141:142]
	v_add_f64 v[173:174], v[173:174], v[185:186]
	v_fma_f64 v[64:65], v[113:114], s[2:3], -v[110:111]
	v_add_f64 v[66:67], v[66:67], v[96:97]
	v_mul_f64 v[96:97], v[133:134], s[18:19]
	v_fma_f64 v[110:111], v[113:114], s[2:3], v[110:111]
	v_add_f64 v[64:65], v[64:65], v[78:79]
	v_fma_f64 v[78:79], v[117:118], s[8:9], -v[96:97]
	v_fma_f64 v[96:97], v[117:118], s[8:9], v[96:97]
	v_add_f64 v[108:109], v[110:111], v[108:109]
	v_add_f64 v[64:65], v[78:79], v[64:65]
	v_fma_f64 v[78:79], v[121:122], s[8:9], v[145:146]
	v_add_f64 v[96:97], v[96:97], v[108:109]
	v_add_f64 v[66:67], v[78:79], v[66:67]
	v_fma_f64 v[78:79], v[125:126], s[10:11], -v[147:148]
	v_add_f64 v[64:65], v[78:79], v[64:65]
	v_fma_f64 v[78:79], v[127:128], s[10:11], v[165:166]
	v_add_f64 v[78:79], v[78:79], v[66:67]
	v_fma_f64 v[66:67], v[131:132], s[16:17], -v[167:168]
	v_add_f64 v[66:67], v[66:67], v[64:65]
	v_fma_f64 v[64:65], v[135:136], s[16:17], v[169:170]
	v_add_f64 v[64:65], v[64:65], v[78:79]
	v_mul_f64 v[78:79], v[123:124], s[20:21]
	v_add_f64 v[78:79], v[157:158], -v[78:79]
	v_mul_f64 v[157:158], v[115:116], s[10:11]
	v_add_f64 v[76:77], v[78:79], v[76:77]
	v_add_f64 v[155:156], v[157:158], v[155:156]
	v_mul_f64 v[157:158], v[121:122], s[16:17]
	v_add_f64 v[76:77], v[86:87], v[76:77]
	v_add_f64 v[78:79], v[155:156], v[80:81]
	;; [unrolled: 1-line block ×3, first 2 shown]
	v_mul_f64 v[171:172], v[143:144], s[30:31]
	v_mul_f64 v[80:81], v[159:160], s[36:37]
	;; [unrolled: 1-line block ×3, first 2 shown]
	v_add_f64 v[78:79], v[157:158], v[78:79]
	v_add_f64 v[171:172], v[187:188], -v[171:172]
	v_add_f64 v[80:81], v[191:192], -v[80:81]
	v_add_f64 v[86:87], v[86:87], v[189:190]
	v_mul_f64 v[157:158], v[137:138], s[26:27]
	v_mul_f64 v[137:138], v[137:138], s[24:25]
	v_add_f64 v[155:156], v[173:174], v[78:79]
	v_add_f64 v[76:77], v[171:172], v[76:77]
	v_fma_f64 v[108:109], v[127:128], s[2:3], v[137:138]
	v_add_f64 v[78:79], v[80:81], v[76:77]
	v_add_f64 v[80:81], v[151:152], -v[84:85]
	v_mul_f64 v[84:85], v[115:116], s[16:17]
	v_add_f64 v[76:77], v[86:87], v[155:156]
	v_mul_f64 v[86:87], v[133:134], s[24:25]
	v_mul_f64 v[151:152], v[143:144], s[34:35]
	;; [unrolled: 1-line block ×3, first 2 shown]
	v_add_f64 v[80:81], v[80:81], v[139:140]
	v_add_f64 v[84:85], v[84:85], v[149:150]
	v_mul_f64 v[149:150], v[121:122], s[2:3]
	v_add_f64 v[86:87], v[163:164], -v[86:87]
	v_add_f64 v[151:152], v[179:180], -v[151:152]
	v_add_f64 v[155:156], v[155:156], v[177:178]
	v_mul_f64 v[163:164], v[153:154], s[24:25]
	v_mul_f64 v[153:154], v[153:154], s[18:19]
	v_add_f64 v[82:83], v[84:85], v[82:83]
	v_add_f64 v[149:150], v[149:150], v[161:162]
	v_mul_f64 v[84:85], v[159:160], s[20:21]
	v_add_f64 v[80:81], v[86:87], v[80:81]
	v_mul_f64 v[86:87], v[135:136], s[10:11]
	v_mul_f64 v[161:162], v[159:160], s[24:25]
	;; [unrolled: 1-line block ×3, first 2 shown]
	v_add_f64 v[82:83], v[149:150], v[82:83]
	v_add_f64 v[84:85], v[183:184], -v[84:85]
	v_add_f64 v[80:81], v[151:152], v[80:81]
	v_add_f64 v[86:87], v[86:87], v[181:182]
	v_mul_f64 v[149:150], v[119:120], s[30:31]
	v_mul_f64 v[151:152], v[129:130], s[34:35]
	;; [unrolled: 1-line block ×4, first 2 shown]
	v_add_f64 v[139:140], v[155:156], v[82:83]
	v_mul_f64 v[155:156], v[143:144], s[26:27]
	v_add_f64 v[82:83], v[84:85], v[80:81]
	v_fma_f64 v[110:111], v[121:122], s[10:11], v[129:130]
	v_add_f64 v[80:81], v[86:87], v[139:140]
	v_mul_f64 v[139:140], v[123:124], s[30:31]
	v_fma_f64 v[86:87], v[115:116], s[8:9], v[149:150]
	v_mul_f64 v[123:124], v[123:124], s[36:37]
	v_fma_f64 v[84:85], v[113:114], s[8:9], -v[139:140]
	v_add_f64 v[86:87], v[86:87], v[100:101]
	v_mul_f64 v[100:101], v[133:134], s[34:35]
	v_fma_f64 v[139:140], v[113:114], s[8:9], v[139:140]
	v_add_f64 v[84:85], v[84:85], v[88:89]
	v_fma_f64 v[88:89], v[117:118], s[22:23], -v[100:101]
	v_fma_f64 v[100:101], v[117:118], s[22:23], v[100:101]
	v_add_f64 v[94:95], v[139:140], v[94:95]
	v_add_f64 v[84:85], v[88:89], v[84:85]
	v_fma_f64 v[88:89], v[121:122], s[22:23], v[151:152]
	v_add_f64 v[94:95], v[100:101], v[94:95]
	v_add_f64 v[86:87], v[88:89], v[86:87]
	v_fma_f64 v[88:89], v[125:126], s[16:17], -v[155:156]
	v_add_f64 v[84:85], v[88:89], v[84:85]
	v_fma_f64 v[88:89], v[127:128], s[16:17], v[157:158]
	v_add_f64 v[88:89], v[88:89], v[86:87]
	v_fma_f64 v[86:87], v[131:132], s[2:3], -v[161:162]
	v_add_f64 v[86:87], v[86:87], v[84:85]
	v_fma_f64 v[84:85], v[135:136], s[2:3], v[163:164]
	v_add_f64 v[84:85], v[84:85], v[88:89]
	v_fma_f64 v[88:89], v[113:114], s[22:23], v[123:124]
	v_fma_f64 v[123:124], v[113:114], s[22:23], -v[123:124]
	v_fma_f64 v[113:114], v[115:116], s[8:9], -v[149:150]
	v_add_f64 v[88:89], v[88:89], v[90:91]
	v_fma_f64 v[90:91], v[115:116], s[22:23], -v[119:120]
	v_fma_f64 v[119:120], v[115:116], s[22:23], v[119:120]
	v_fma_f64 v[115:116], v[115:116], s[2:3], -v[141:142]
	v_add_f64 v[106:107], v[113:114], v[106:107]
	v_add_f64 v[92:93], v[123:124], v[92:93]
	v_fma_f64 v[113:114], v[121:122], s[22:23], -v[151:152]
	v_add_f64 v[90:91], v[90:91], v[98:99]
	v_mul_f64 v[98:99], v[133:134], s[20:21]
	v_add_f64 v[104:105], v[119:120], v[104:105]
	v_add_f64 v[102:103], v[115:116], v[102:103]
	v_fma_f64 v[115:116], v[127:128], s[10:11], -v[165:166]
	v_add_f64 v[100:101], v[113:114], v[106:107]
	v_fma_f64 v[106:107], v[125:126], s[16:17], v[155:156]
	v_fma_f64 v[113:114], v[127:128], s[16:17], -v[157:158]
	v_fma_f64 v[133:134], v[117:118], s[10:11], v[98:99]
	v_fma_f64 v[98:99], v[117:118], s[10:11], -v[98:99]
	v_fma_f64 v[117:118], v[121:122], s[8:9], -v[145:146]
	v_add_f64 v[100:101], v[113:114], v[100:101]
	v_fma_f64 v[113:114], v[135:136], s[2:3], -v[163:164]
	v_add_f64 v[88:89], v[133:134], v[88:89]
	;; [unrolled: 2-line block ×3, first 2 shown]
	v_add_f64 v[98:99], v[110:111], v[104:105]
	v_fma_f64 v[110:111], v[125:126], s[10:11], v[147:148]
	v_add_f64 v[102:103], v[117:118], v[102:103]
	v_fma_f64 v[117:118], v[135:136], s[16:17], -v[169:170]
	v_add_f64 v[90:91], v[133:134], v[90:91]
	v_mul_f64 v[133:134], v[143:144], s[24:25]
	v_add_f64 v[98:99], v[108:109], v[98:99]
	v_add_f64 v[110:111], v[110:111], v[96:97]
	v_fma_f64 v[96:97], v[135:136], s[8:9], v[153:154]
	v_fma_f64 v[108:109], v[131:132], s[16:17], v[167:168]
	v_add_f64 v[115:116], v[115:116], v[102:103]
	v_fma_f64 v[143:144], v[125:126], s[2:3], v[133:134]
	v_fma_f64 v[104:105], v[125:126], s[2:3], -v[133:134]
	v_add_f64 v[102:103], v[108:109], v[110:111]
	v_add_f64 v[88:89], v[143:144], v[88:89]
	v_fma_f64 v[143:144], v[127:128], s[2:3], -v[137:138]
	v_add_f64 v[92:93], v[104:105], v[92:93]
	v_add_f64 v[104:105], v[106:107], v[94:95]
	v_fma_f64 v[94:95], v[131:132], s[8:9], -v[159:160]
	v_fma_f64 v[106:107], v[131:132], s[2:3], v[161:162]
	v_add_f64 v[143:144], v[143:144], v[90:91]
	v_fma_f64 v[90:91], v[131:132], s[8:9], v[159:160]
	v_add_f64 v[94:95], v[94:95], v[92:93]
	v_add_f64 v[92:93], v[96:97], v[98:99]
	;; [unrolled: 1-line block ×5, first 2 shown]
	v_mov_b32_e32 v104, 4
	v_lshlrev_b32_sdwa v104, v104, v196 dst_sel:DWORD dst_unused:UNUSED_PAD src0_sel:DWORD src1_sel:WORD_0
	v_add_f64 v[90:91], v[90:91], v[88:89]
	v_fma_f64 v[88:89], v[135:136], s[8:9], -v[153:154]
	v_add_f64 v[88:89], v[88:89], v[143:144]
	ds_write_b128 v104, v[0:3]
	ds_write_b128 v104, v[64:67] offset:16
	ds_write_b128 v104, v[76:79] offset:32
	ds_write_b128 v104, v[80:83] offset:48
	ds_write_b128 v104, v[84:87] offset:64
	ds_write_b128 v104, v[92:95] offset:80
	ds_write_b128 v104, v[88:91] offset:96
	ds_write_b128 v104, v[96:99] offset:112
	ds_write_b128 v104, v[68:71] offset:128
	ds_write_b128 v104, v[72:75] offset:144
	ds_write_b128 v104, v[100:103] offset:160
.LBB0_17:
	s_or_b32 exec_lo, exec_lo, s1
	s_waitcnt lgkmcnt(0)
	s_barrier
	buffer_gl0_inv
	ds_read_b128 v[0:3], v193 offset:880
	ds_read_b128 v[64:67], v193 offset:1760
	;; [unrolled: 1-line block ×7, first 2 shown]
	ds_read_b128 v[96:99], v193
	s_mov_b32 s2, 0x667f3bcd
	s_mov_b32 s3, 0xbfe6a09e
	;; [unrolled: 1-line block ×4, first 2 shown]
	s_waitcnt lgkmcnt(0)
	s_barrier
	buffer_gl0_inv
	v_mul_f64 v[100:101], v[30:31], v[2:3]
	v_mul_f64 v[30:31], v[30:31], v[0:1]
	;; [unrolled: 1-line block ×14, first 2 shown]
	v_fma_f64 v[0:1], v[28:29], v[0:1], v[100:101]
	v_fma_f64 v[2:3], v[28:29], v[2:3], -v[30:31]
	v_fma_f64 v[28:29], v[24:25], v[64:65], v[102:103]
	v_fma_f64 v[24:25], v[24:25], v[66:67], -v[26:27]
	;; [unrolled: 2-line block ×7, first 2 shown]
	v_add_f64 v[26:27], v[96:97], -v[26:27]
	v_add_f64 v[20:21], v[98:99], -v[20:21]
	;; [unrolled: 1-line block ×8, first 2 shown]
	v_fma_f64 v[42:43], v[96:97], 2.0, -v[26:27]
	v_fma_f64 v[46:47], v[98:99], 2.0, -v[20:21]
	;; [unrolled: 1-line block ×6, first 2 shown]
	v_add_f64 v[64:65], v[26:27], v[30:31]
	v_add_f64 v[66:67], v[20:21], -v[22:23]
	v_fma_f64 v[22:23], v[44:45], 2.0, -v[38:39]
	v_fma_f64 v[30:31], v[40:41], 2.0, -v[36:37]
	v_add_f64 v[36:37], v[32:33], v[36:37]
	v_add_f64 v[38:39], v[34:35], -v[38:39]
	v_add_f64 v[40:41], v[42:43], -v[28:29]
	;; [unrolled: 1-line block ×3, first 2 shown]
	v_fma_f64 v[76:77], v[26:27], 2.0, -v[64:65]
	v_fma_f64 v[78:79], v[20:21], 2.0, -v[66:67]
	v_add_f64 v[22:23], v[0:1], -v[22:23]
	v_add_f64 v[20:21], v[2:3], -v[30:31]
	v_fma_f64 v[32:33], v[32:33], 2.0, -v[36:37]
	v_fma_f64 v[34:35], v[34:35], 2.0, -v[38:39]
	v_fma_f64 v[24:25], v[36:37], s[8:9], v[64:65]
	v_fma_f64 v[26:27], v[38:39], s[8:9], v[66:67]
	v_fma_f64 v[42:43], v[42:43], 2.0, -v[40:41]
	v_fma_f64 v[46:47], v[46:47], 2.0, -v[44:45]
	;; [unrolled: 1-line block ×4, first 2 shown]
	v_fma_f64 v[80:81], v[32:33], s[2:3], v[76:77]
	v_fma_f64 v[82:83], v[34:35], s[2:3], v[78:79]
	v_add_f64 v[20:21], v[40:41], v[20:21]
	v_add_f64 v[22:23], v[44:45], -v[22:23]
	v_fma_f64 v[24:25], v[38:39], s[8:9], v[24:25]
	v_fma_f64 v[26:27], v[36:37], s[2:3], v[26:27]
	v_add_f64 v[28:29], v[42:43], -v[0:1]
	v_add_f64 v[30:31], v[46:47], -v[2:3]
	v_fma_f64 v[0:1], v[34:35], s[8:9], v[80:81]
	v_fma_f64 v[2:3], v[32:33], s[2:3], v[82:83]
	v_fma_f64 v[32:33], v[40:41], 2.0, -v[20:21]
	v_fma_f64 v[34:35], v[44:45], 2.0, -v[22:23]
	;; [unrolled: 1-line block ×8, first 2 shown]
	ds_write_b128 v197, v[20:23] offset:1056
	ds_write_b128 v197, v[24:27] offset:1232
	;; [unrolled: 1-line block ×6, first 2 shown]
	ds_write_b128 v197, v[40:43]
	ds_write_b128 v197, v[44:47] offset:176
	s_waitcnt lgkmcnt(0)
	s_barrier
	buffer_gl0_inv
	ds_read_b128 v[28:31], v193
	ds_read_b128 v[44:47], v193 offset:1408
	ds_read_b128 v[32:35], v193 offset:2816
	ds_read_b128 v[36:39], v193 offset:4224
	ds_read_b128 v[40:43], v193 offset:5632
	s_and_saveexec_b32 s1, s0
	s_cbranch_execz .LBB0_19
; %bb.18:
	ds_read_b128 v[0:3], v193 offset:880
	ds_read_b128 v[20:23], v193 offset:2288
	;; [unrolled: 1-line block ×5, first 2 shown]
.LBB0_19:
	s_or_b32 exec_lo, exec_lo, s1
	s_waitcnt lgkmcnt(3)
	v_mul_f64 v[64:65], v[50:51], v[46:47]
	s_waitcnt lgkmcnt(2)
	v_mul_f64 v[66:67], v[62:63], v[34:35]
	s_waitcnt lgkmcnt(1)
	v_mul_f64 v[76:77], v[58:59], v[38:39]
	s_waitcnt lgkmcnt(0)
	v_mul_f64 v[78:79], v[54:55], v[42:43]
	v_mul_f64 v[62:63], v[62:63], v[32:33]
	v_mul_f64 v[58:59], v[58:59], v[36:37]
	;; [unrolled: 1-line block ×4, first 2 shown]
	s_mov_b32 s2, 0x134454ff
	s_mov_b32 s3, 0xbfee6f0e
	;; [unrolled: 1-line block ×10, first 2 shown]
	v_fma_f64 v[44:45], v[48:49], v[44:45], v[64:65]
	v_fma_f64 v[32:33], v[60:61], v[32:33], v[66:67]
	;; [unrolled: 1-line block ×4, first 2 shown]
	v_fma_f64 v[34:35], v[60:61], v[34:35], -v[62:63]
	v_fma_f64 v[38:39], v[56:57], v[38:39], -v[58:59]
	;; [unrolled: 1-line block ×4, first 2 shown]
	v_add_f64 v[56:57], v[28:29], v[44:45]
	v_add_f64 v[48:49], v[32:33], v[36:37]
	;; [unrolled: 1-line block ×3, first 2 shown]
	v_add_f64 v[64:65], v[44:45], -v[40:41]
	v_add_f64 v[52:53], v[34:35], v[38:39]
	v_add_f64 v[62:63], v[30:31], v[46:47]
	;; [unrolled: 1-line block ×3, first 2 shown]
	v_add_f64 v[58:59], v[46:47], -v[42:43]
	v_add_f64 v[60:61], v[34:35], -v[38:39]
	;; [unrolled: 1-line block ×8, first 2 shown]
	v_fma_f64 v[48:49], v[48:49], -0.5, v[28:29]
	v_fma_f64 v[28:29], v[50:51], -0.5, v[28:29]
	v_add_f64 v[50:51], v[32:33], -v[36:37]
	v_fma_f64 v[52:53], v[52:53], -0.5, v[30:31]
	v_add_f64 v[34:35], v[62:63], v[34:35]
	v_fma_f64 v[30:31], v[54:55], -0.5, v[30:31]
	v_add_f64 v[54:55], v[44:45], -v[32:33]
	v_add_f64 v[44:45], v[32:33], -v[44:45]
	v_add_f64 v[32:33], v[56:57], v[32:33]
	v_add_f64 v[46:47], v[46:47], v[82:83]
	v_fma_f64 v[56:57], v[58:59], s[2:3], v[48:49]
	v_fma_f64 v[48:49], v[58:59], s[8:9], v[48:49]
	v_fma_f64 v[62:63], v[60:61], s[8:9], v[28:29]
	v_fma_f64 v[28:29], v[60:61], s[2:3], v[28:29]
	v_fma_f64 v[84:85], v[64:65], s[8:9], v[52:53]
	v_fma_f64 v[86:87], v[50:51], s[2:3], v[30:31]
	v_fma_f64 v[30:31], v[50:51], s[8:9], v[30:31]
	v_fma_f64 v[52:53], v[64:65], s[2:3], v[52:53]
	v_add_f64 v[32:33], v[32:33], v[36:37]
	v_add_f64 v[34:35], v[34:35], v[38:39]
	;; [unrolled: 1-line block ×5, first 2 shown]
	v_fma_f64 v[36:37], v[60:61], s[16:17], v[56:57]
	v_fma_f64 v[38:39], v[60:61], s[10:11], v[48:49]
	;; [unrolled: 1-line block ×8, first 2 shown]
	v_add_f64 v[28:29], v[32:33], v[40:41]
	v_add_f64 v[30:31], v[34:35], v[42:43]
	v_fma_f64 v[32:33], v[54:55], s[18:19], v[36:37]
	v_fma_f64 v[36:37], v[54:55], s[18:19], v[38:39]
	;; [unrolled: 1-line block ×8, first 2 shown]
	ds_write_b128 v193, v[28:31]
	ds_write_b128 v193, v[32:35] offset:1408
	ds_write_b128 v193, v[40:43] offset:2816
	;; [unrolled: 1-line block ×4, first 2 shown]
	s_and_saveexec_b32 s1, s0
	s_cbranch_execz .LBB0_21
; %bb.20:
	v_mul_f64 v[28:29], v[18:19], v[24:25]
	v_mul_f64 v[30:31], v[6:7], v[20:21]
	v_mul_f64 v[32:33], v[10:11], v[72:73]
	v_mul_f64 v[34:35], v[14:15], v[68:69]
	v_mul_f64 v[18:19], v[18:19], v[26:27]
	v_mul_f64 v[14:15], v[14:15], v[70:71]
	v_mul_f64 v[6:7], v[6:7], v[22:23]
	v_mul_f64 v[10:11], v[10:11], v[74:75]
	v_fma_f64 v[26:27], v[16:17], v[26:27], -v[28:29]
	v_fma_f64 v[22:23], v[4:5], v[22:23], -v[30:31]
	;; [unrolled: 1-line block ×4, first 2 shown]
	v_fma_f64 v[16:17], v[16:17], v[24:25], v[18:19]
	v_fma_f64 v[12:13], v[12:13], v[68:69], v[14:15]
	;; [unrolled: 1-line block ×4, first 2 shown]
	v_add_f64 v[32:33], v[2:3], v[22:23]
	v_add_f64 v[8:9], v[28:29], v[22:23]
	;; [unrolled: 1-line block ×3, first 2 shown]
	v_add_f64 v[36:37], v[22:23], -v[28:29]
	v_add_f64 v[14:15], v[16:17], v[12:13]
	v_add_f64 v[34:35], v[0:1], v[4:5]
	v_add_f64 v[18:19], v[6:7], v[4:5]
	v_add_f64 v[20:21], v[16:17], -v[12:13]
	v_add_f64 v[24:25], v[4:5], -v[6:7]
	;; [unrolled: 1-line block ×8, first 2 shown]
	v_fma_f64 v[8:9], v[8:9], -0.5, v[2:3]
	v_fma_f64 v[2:3], v[10:11], -0.5, v[2:3]
	v_add_f64 v[10:11], v[26:27], -v[30:31]
	v_fma_f64 v[14:15], v[14:15], -0.5, v[0:1]
	v_add_f64 v[16:17], v[16:17], v[34:35]
	v_fma_f64 v[0:1], v[18:19], -0.5, v[0:1]
	v_add_f64 v[18:19], v[26:27], -v[22:23]
	v_add_f64 v[22:23], v[22:23], -v[26:27]
	v_add_f64 v[26:27], v[26:27], v[32:33]
	v_fma_f64 v[32:33], v[20:21], s[8:9], v[8:9]
	v_fma_f64 v[8:9], v[20:21], s[2:3], v[8:9]
	;; [unrolled: 1-line block ×8, first 2 shown]
	v_add_f64 v[22:23], v[40:41], v[22:23]
	v_add_f64 v[40:41], v[46:47], v[4:5]
	;; [unrolled: 1-line block ×6, first 2 shown]
	v_fma_f64 v[16:17], v[24:25], s[16:17], v[32:33]
	v_fma_f64 v[8:9], v[24:25], s[10:11], v[8:9]
	;; [unrolled: 1-line block ×8, first 2 shown]
	v_add_f64 v[2:3], v[28:29], v[4:5]
	v_add_f64 v[0:1], v[6:7], v[12:13]
	v_fma_f64 v[6:7], v[18:19], s[18:19], v[16:17]
	v_fma_f64 v[10:11], v[18:19], s[18:19], v[8:9]
	v_fma_f64 v[14:15], v[22:23], s[18:19], v[24:25]
	v_fma_f64 v[18:19], v[22:23], s[18:19], v[20:21]
	v_fma_f64 v[16:17], v[40:41], s[18:19], v[26:27]
	v_fma_f64 v[8:9], v[38:39], s[18:19], v[30:31]
	v_fma_f64 v[4:5], v[38:39], s[18:19], v[32:33]
	v_fma_f64 v[12:13], v[40:41], s[18:19], v[34:35]
	ds_write_b128 v193, v[0:3] offset:880
	ds_write_b128 v193, v[16:19] offset:2288
	;; [unrolled: 1-line block ×5, first 2 shown]
.LBB0_21:
	s_or_b32 exec_lo, exec_lo, s1
	s_waitcnt lgkmcnt(0)
	s_barrier
	buffer_gl0_inv
	s_and_b32 exec_lo, exec_lo, vcc_lo
	s_cbranch_execz .LBB0_23
; %bb.22:
	v_add_co_u32 v32, s0, s14, v193
	v_add_co_ci_u32_e64 v33, null, s15, 0, s0
	global_load_dwordx4 v[0:3], v193, s[14:15]
	v_add_co_u32 v24, vcc_lo, 0x800, v32
	v_add_co_ci_u32_e32 v25, vcc_lo, 0, v33, vcc_lo
	v_add_co_u32 v36, vcc_lo, 0x1000, v32
	s_clause 0x1
	global_load_dwordx4 v[4:7], v193, s[14:15] offset:640
	global_load_dwordx4 v[8:11], v193, s[14:15] offset:1280
	v_lshlrev_b32_e32 v28, 4, v194
	v_add_co_ci_u32_e32 v37, vcc_lo, 0, v33, vcc_lo
	s_clause 0x4
	global_load_dwordx4 v[12:15], v193, s[14:15] offset:1920
	global_load_dwordx4 v[16:19], v[24:25], off offset:512
	global_load_dwordx4 v[20:23], v[24:25], off offset:1152
	;; [unrolled: 1-line block ×3, first 2 shown]
	global_load_dwordx4 v[28:31], v28, s[14:15]
	v_add_co_u32 v40, vcc_lo, 0x1800, v32
	v_add_co_ci_u32_e32 v41, vcc_lo, 0, v33, vcc_lo
	s_clause 0x2
	global_load_dwordx4 v[32:35], v[36:37], off offset:384
	global_load_dwordx4 v[36:39], v[36:37], off offset:1664
	;; [unrolled: 1-line block ×3, first 2 shown]
	v_mad_u64_u32 v[44:45], null, s6, v112, 0
	v_mad_u64_u32 v[46:47], null, s4, v195, 0
	s_mul_i32 s0, s5, 0x280
	s_mul_hi_u32 s1, s4, 0x280
	s_mul_i32 s2, s4, 0x280
	s_add_i32 s3, s1, s0
	v_mad_u64_u32 v[98:99], null, s4, v194, 0
	v_mad_u64_u32 v[48:49], null, s7, v112, v[45:46]
	s_mov_b32 s0, 0x29e4129e
	s_mov_b32 s1, 0x3f629e41
	v_mov_b32_e32 v60, v99
	v_mad_u64_u32 v[49:50], null, s5, v195, v[47:48]
	v_mov_b32_e32 v45, v48
	v_mad_u64_u32 v[72:73], null, s5, v194, v[60:61]
	v_lshlrev_b64 v[44:45], 4, v[44:45]
	v_mov_b32_e32 v47, v49
	v_mov_b32_e32 v99, v72
	v_lshlrev_b64 v[46:47], 4, v[46:47]
	v_add_co_u32 v130, vcc_lo, s12, v44
	v_add_co_ci_u32_e32 v131, vcc_lo, s13, v45, vcc_lo
	v_lshlrev_b64 v[98:99], 4, v[98:99]
	v_add_co_u32 v88, vcc_lo, v130, v46
	v_add_co_ci_u32_e32 v89, vcc_lo, v131, v47, vcc_lo
	ds_read_b128 v[44:47], v193
	ds_read_b128 v[48:51], v193 offset:640
	v_add_co_u32 v90, vcc_lo, v88, s2
	v_add_co_ci_u32_e32 v91, vcc_lo, s3, v89, vcc_lo
	ds_read_b128 v[52:55], v193 offset:1280
	ds_read_b128 v[56:59], v193 offset:1920
	v_add_co_u32 v92, vcc_lo, v90, s2
	v_add_co_ci_u32_e32 v93, vcc_lo, s3, v91, vcc_lo
	ds_read_b128 v[60:63], v193 offset:5120
	ds_read_b128 v[64:67], v193 offset:2560
	;; [unrolled: 1-line block ×3, first 2 shown]
	v_add_co_u32 v94, vcc_lo, v92, s2
	v_add_co_ci_u32_e32 v95, vcc_lo, s3, v93, vcc_lo
	ds_read_b128 v[72:75], v193 offset:3840
	ds_read_b128 v[76:79], v193 offset:4480
	;; [unrolled: 1-line block ×4, first 2 shown]
	v_add_co_u32 v96, vcc_lo, v94, s2
	v_add_co_ci_u32_e32 v97, vcc_lo, s3, v95, vcc_lo
	v_add_co_u32 v100, vcc_lo, v96, s2
	v_add_co_ci_u32_e32 v101, vcc_lo, s3, v97, vcc_lo
	;; [unrolled: 2-line block ×4, first 2 shown]
	v_mad_u64_u32 v[106:107], null, 0x500, s4, v[104:105]
	v_mad_u64_u32 v[107:108], null, 0x500, s5, v[107:108]
	s_waitcnt vmcnt(10) lgkmcnt(10)
	v_mul_f64 v[108:109], v[46:47], v[2:3]
	v_mul_f64 v[2:3], v[44:45], v[2:3]
	s_waitcnt vmcnt(9) lgkmcnt(9)
	v_mul_f64 v[110:111], v[50:51], v[6:7]
	v_mul_f64 v[6:7], v[48:49], v[6:7]
	;; [unrolled: 3-line block ×5, first 2 shown]
	s_waitcnt lgkmcnt(5)
	v_mul_f64 v[118:119], v[66:67], v[18:19]
	v_mul_f64 v[18:19], v[64:65], v[18:19]
	s_waitcnt lgkmcnt(4)
	v_mul_f64 v[120:121], v[70:71], v[22:23]
	v_mul_f64 v[22:23], v[68:69], v[22:23]
	;; [unrolled: 3-line block ×3, first 2 shown]
	s_waitcnt vmcnt(2) lgkmcnt(2)
	v_mul_f64 v[124:125], v[78:79], v[34:35]
	v_mul_f64 v[34:35], v[76:77], v[34:35]
	s_waitcnt vmcnt(1) lgkmcnt(1)
	v_mul_f64 v[126:127], v[82:83], v[38:39]
	v_mul_f64 v[38:39], v[80:81], v[38:39]
	;; [unrolled: 3-line block ×3, first 2 shown]
	v_fma_f64 v[44:45], v[44:45], v[0:1], v[108:109]
	v_fma_f64 v[2:3], v[0:1], v[46:47], -v[2:3]
	v_fma_f64 v[46:47], v[48:49], v[4:5], v[110:111]
	v_fma_f64 v[6:7], v[4:5], v[50:51], -v[6:7]
	;; [unrolled: 2-line block ×11, first 2 shown]
	v_mul_f64 v[0:1], v[44:45], s[0:1]
	v_mul_f64 v[2:3], v[2:3], s[0:1]
	;; [unrolled: 1-line block ×22, first 2 shown]
	v_add_co_u32 v44, vcc_lo, v130, v98
	v_add_co_ci_u32_e32 v45, vcc_lo, v131, v99, vcc_lo
	v_add_co_u32 v46, vcc_lo, v106, s2
	v_add_co_ci_u32_e32 v47, vcc_lo, s3, v107, vcc_lo
	global_store_dwordx4 v[88:89], v[0:3], off
	global_store_dwordx4 v[90:91], v[4:7], off
	global_store_dwordx4 v[92:93], v[8:11], off
	global_store_dwordx4 v[94:95], v[12:15], off
	global_store_dwordx4 v[96:97], v[20:23], off
	global_store_dwordx4 v[100:101], v[24:27], off
	global_store_dwordx4 v[102:103], v[28:31], off
	global_store_dwordx4 v[104:105], v[32:35], off
	global_store_dwordx4 v[44:45], v[16:19], off
	global_store_dwordx4 v[106:107], v[36:39], off
	global_store_dwordx4 v[46:47], v[40:43], off
.LBB0_23:
	s_endpgm
	.section	.rodata,"a",@progbits
	.p2align	6, 0x0
	.amdhsa_kernel bluestein_single_back_len440_dim1_dp_op_CI_CI
		.amdhsa_group_segment_fixed_size 7040
		.amdhsa_private_segment_fixed_size 0
		.amdhsa_kernarg_size 104
		.amdhsa_user_sgpr_count 6
		.amdhsa_user_sgpr_private_segment_buffer 1
		.amdhsa_user_sgpr_dispatch_ptr 0
		.amdhsa_user_sgpr_queue_ptr 0
		.amdhsa_user_sgpr_kernarg_segment_ptr 1
		.amdhsa_user_sgpr_dispatch_id 0
		.amdhsa_user_sgpr_flat_scratch_init 0
		.amdhsa_user_sgpr_private_segment_size 0
		.amdhsa_wavefront_size32 1
		.amdhsa_uses_dynamic_stack 0
		.amdhsa_system_sgpr_private_segment_wavefront_offset 0
		.amdhsa_system_sgpr_workgroup_id_x 1
		.amdhsa_system_sgpr_workgroup_id_y 0
		.amdhsa_system_sgpr_workgroup_id_z 0
		.amdhsa_system_sgpr_workgroup_info 0
		.amdhsa_system_vgpr_workitem_id 0
		.amdhsa_next_free_vgpr 233
		.amdhsa_next_free_sgpr 42
		.amdhsa_reserve_vcc 1
		.amdhsa_reserve_flat_scratch 0
		.amdhsa_float_round_mode_32 0
		.amdhsa_float_round_mode_16_64 0
		.amdhsa_float_denorm_mode_32 3
		.amdhsa_float_denorm_mode_16_64 3
		.amdhsa_dx10_clamp 1
		.amdhsa_ieee_mode 1
		.amdhsa_fp16_overflow 0
		.amdhsa_workgroup_processor_mode 1
		.amdhsa_memory_ordered 1
		.amdhsa_forward_progress 0
		.amdhsa_shared_vgpr_count 0
		.amdhsa_exception_fp_ieee_invalid_op 0
		.amdhsa_exception_fp_denorm_src 0
		.amdhsa_exception_fp_ieee_div_zero 0
		.amdhsa_exception_fp_ieee_overflow 0
		.amdhsa_exception_fp_ieee_underflow 0
		.amdhsa_exception_fp_ieee_inexact 0
		.amdhsa_exception_int_div_zero 0
	.end_amdhsa_kernel
	.text
.Lfunc_end0:
	.size	bluestein_single_back_len440_dim1_dp_op_CI_CI, .Lfunc_end0-bluestein_single_back_len440_dim1_dp_op_CI_CI
                                        ; -- End function
	.section	.AMDGPU.csdata,"",@progbits
; Kernel info:
; codeLenInByte = 14116
; NumSgprs: 44
; NumVgprs: 233
; ScratchSize: 0
; MemoryBound: 0
; FloatMode: 240
; IeeeMode: 1
; LDSByteSize: 7040 bytes/workgroup (compile time only)
; SGPRBlocks: 5
; VGPRBlocks: 29
; NumSGPRsForWavesPerEU: 44
; NumVGPRsForWavesPerEU: 233
; Occupancy: 4
; WaveLimiterHint : 1
; COMPUTE_PGM_RSRC2:SCRATCH_EN: 0
; COMPUTE_PGM_RSRC2:USER_SGPR: 6
; COMPUTE_PGM_RSRC2:TRAP_HANDLER: 0
; COMPUTE_PGM_RSRC2:TGID_X_EN: 1
; COMPUTE_PGM_RSRC2:TGID_Y_EN: 0
; COMPUTE_PGM_RSRC2:TGID_Z_EN: 0
; COMPUTE_PGM_RSRC2:TIDIG_COMP_CNT: 0
	.text
	.p2alignl 6, 3214868480
	.fill 48, 4, 3214868480
	.type	__hip_cuid_94eca785c8447de3,@object ; @__hip_cuid_94eca785c8447de3
	.section	.bss,"aw",@nobits
	.globl	__hip_cuid_94eca785c8447de3
__hip_cuid_94eca785c8447de3:
	.byte	0                               ; 0x0
	.size	__hip_cuid_94eca785c8447de3, 1

	.ident	"AMD clang version 19.0.0git (https://github.com/RadeonOpenCompute/llvm-project roc-6.4.0 25133 c7fe45cf4b819c5991fe208aaa96edf142730f1d)"
	.section	".note.GNU-stack","",@progbits
	.addrsig
	.addrsig_sym __hip_cuid_94eca785c8447de3
	.amdgpu_metadata
---
amdhsa.kernels:
  - .args:
      - .actual_access:  read_only
        .address_space:  global
        .offset:         0
        .size:           8
        .value_kind:     global_buffer
      - .actual_access:  read_only
        .address_space:  global
        .offset:         8
        .size:           8
        .value_kind:     global_buffer
      - .actual_access:  read_only
        .address_space:  global
        .offset:         16
        .size:           8
        .value_kind:     global_buffer
      - .actual_access:  read_only
        .address_space:  global
        .offset:         24
        .size:           8
        .value_kind:     global_buffer
      - .actual_access:  read_only
        .address_space:  global
        .offset:         32
        .size:           8
        .value_kind:     global_buffer
      - .offset:         40
        .size:           8
        .value_kind:     by_value
      - .address_space:  global
        .offset:         48
        .size:           8
        .value_kind:     global_buffer
      - .address_space:  global
        .offset:         56
        .size:           8
        .value_kind:     global_buffer
      - .address_space:  global
        .offset:         64
        .size:           8
        .value_kind:     global_buffer
      - .address_space:  global
        .offset:         72
        .size:           8
        .value_kind:     global_buffer
      - .offset:         80
        .size:           4
        .value_kind:     by_value
      - .address_space:  global
        .offset:         88
        .size:           8
        .value_kind:     global_buffer
      - .address_space:  global
        .offset:         96
        .size:           8
        .value_kind:     global_buffer
    .group_segment_fixed_size: 7040
    .kernarg_segment_align: 8
    .kernarg_segment_size: 104
    .language:       OpenCL C
    .language_version:
      - 2
      - 0
    .max_flat_workgroup_size: 55
    .name:           bluestein_single_back_len440_dim1_dp_op_CI_CI
    .private_segment_fixed_size: 0
    .sgpr_count:     44
    .sgpr_spill_count: 0
    .symbol:         bluestein_single_back_len440_dim1_dp_op_CI_CI.kd
    .uniform_work_group_size: 1
    .uses_dynamic_stack: false
    .vgpr_count:     233
    .vgpr_spill_count: 0
    .wavefront_size: 32
    .workgroup_processor_mode: 1
amdhsa.target:   amdgcn-amd-amdhsa--gfx1030
amdhsa.version:
  - 1
  - 2
...

	.end_amdgpu_metadata
